;; amdgpu-corpus repo=ROCm/rocFFT kind=compiled arch=gfx906 opt=O3
	.text
	.amdgcn_target "amdgcn-amd-amdhsa--gfx906"
	.amdhsa_code_object_version 6
	.protected	bluestein_single_fwd_len200_dim1_sp_op_CI_CI ; -- Begin function bluestein_single_fwd_len200_dim1_sp_op_CI_CI
	.globl	bluestein_single_fwd_len200_dim1_sp_op_CI_CI
	.p2align	8
	.type	bluestein_single_fwd_len200_dim1_sp_op_CI_CI,@function
bluestein_single_fwd_len200_dim1_sp_op_CI_CI: ; @bluestein_single_fwd_len200_dim1_sp_op_CI_CI
; %bb.0:
	v_mul_u32_u24_e32 v1, 0xccd, v0
	s_load_dwordx4 s[16:19], s[4:5], 0x28
	v_lshrrev_b32_e32 v1, 16, v1
	v_mad_u64_u32 v[18:19], s[0:1], s6, 3, v[1:2]
	v_mov_b32_e32 v19, 0
	s_waitcnt lgkmcnt(0)
	v_cmp_gt_u64_e32 vcc, s[16:17], v[18:19]
	s_and_saveexec_b64 s[0:1], vcc
	s_cbranch_execz .LBB0_2
; %bb.1:
	s_load_dwordx4 s[0:3], s[4:5], 0x18
	s_load_dwordx4 s[8:11], s[4:5], 0x0
	v_mul_lo_u16_e32 v1, 20, v1
	v_sub_u16_e32 v52, v0, v1
	v_mov_b32_e32 v7, s19
	s_waitcnt lgkmcnt(0)
	s_load_dwordx4 s[12:15], s[0:1], 0x0
	s_add_u32 s6, s8, 0x640
	s_addc_u32 s7, s9, 0
	v_lshlrev_b32_e32 v53, 3, v52
	v_or_b32_e32 v50, 0xa0, v52
	s_waitcnt lgkmcnt(0)
	v_mad_u64_u32 v[0:1], s[0:1], s14, v18, 0
	v_mad_u64_u32 v[2:3], s[0:1], s12, v52, 0
	s_mul_i32 s14, s12, 0xa0
	v_mov_b32_e32 v49, 0x140
	v_mad_u64_u32 v[4:5], s[0:1], s15, v18, v[1:2]
	v_mad_u64_u32 v[5:6], s[0:1], s13, v52, v[3:4]
	v_mov_b32_e32 v1, v4
	v_lshlrev_b64 v[0:1], 3, v[0:1]
	v_mov_b32_e32 v3, v5
	v_add_co_u32_e32 v19, vcc, s18, v0
	v_addc_co_u32_e32 v20, vcc, v7, v1, vcc
	v_lshlrev_b64 v[0:1], 3, v[2:3]
	s_mul_i32 s0, s13, 0xa0
	v_add_co_u32_e32 v0, vcc, v19, v0
	s_mul_hi_u32 s1, s12, 0xa0
	v_addc_co_u32_e32 v1, vcc, v20, v1, vcc
	s_add_i32 s0, s1, s0
	global_load_dwordx2 v[2:3], v[0:1], off
	v_mov_b32_e32 v4, s0
	v_add_co_u32_e32 v0, vcc, s14, v0
	v_addc_co_u32_e32 v1, vcc, v1, v4, vcc
	v_mov_b32_e32 v5, s0
	v_add_co_u32_e32 v4, vcc, s14, v0
	v_addc_co_u32_e32 v5, vcc, v1, v5, vcc
	;; [unrolled: 3-line block ×3, first 2 shown]
	v_mov_b32_e32 v9, s0
	v_add_co_u32_e32 v8, vcc, s14, v6
	global_load_dwordx2 v[35:36], v53, s[8:9]
	global_load_dwordx2 v[33:34], v53, s[8:9] offset:160
	global_load_dwordx2 v[27:28], v53, s[8:9] offset:320
	;; [unrolled: 1-line block ×3, first 2 shown]
	v_addc_co_u32_e32 v9, vcc, v7, v9, vcc
	global_load_dwordx2 v[10:11], v[0:1], off
	global_load_dwordx2 v[12:13], v[4:5], off
	;; [unrolled: 1-line block ×4, first 2 shown]
	v_mov_b32_e32 v1, s0
	v_add_co_u32_e32 v0, vcc, s14, v8
	v_addc_co_u32_e32 v1, vcc, v9, v1, vcc
	v_mov_b32_e32 v6, s0
	v_mov_b32_e32 v16, s0
	v_mad_u64_u32 v[8:9], s[0:1], s12, v50, 0
	global_load_dwordx2 v[4:5], v[0:1], off
	v_add_co_u32_e32 v0, vcc, s14, v0
	v_addc_co_u32_e32 v1, vcc, v1, v6, vcc
	global_load_dwordx2 v[6:7], v[0:1], off
	v_add_co_u32_e32 v0, vcc, s14, v0
	v_addc_co_u32_e32 v1, vcc, v1, v16, vcc
	global_load_dwordx2 v[31:32], v53, s[8:9] offset:640
	global_load_dwordx2 v[29:30], v53, s[8:9] offset:800
	global_load_dwordx2 v[40:41], v[0:1], off
	global_load_dwordx2 v[25:26], v53, s[8:9] offset:960
	global_load_dwordx2 v[21:22], v53, s[8:9] offset:1120
	v_mad_u64_u32 v[0:1], s[0:1], s12, v49, v[0:1]
	s_waitcnt vmcnt(10)
	v_mad_u64_u32 v[16:17], s[0:1], s13, v50, v[9:10]
	s_mul_i32 s0, s13, 0x140
	v_add_u32_e32 v1, s0, v1
	v_mov_b32_e32 v9, v16
	v_lshlrev_b64 v[8:9], 3, v[8:9]
	s_mov_b32 s0, 0xaaaaaaab
	v_add_co_u32_e32 v8, vcc, v19, v8
	v_addc_co_u32_e32 v9, vcc, v20, v9, vcc
	global_load_dwordx2 v[42:43], v[8:9], off
	global_load_dwordx2 v[19:20], v53, s[8:9] offset:1280
	s_nop 0
	global_load_dwordx2 v[8:9], v[0:1], off
	global_load_dwordx2 v[16:17], v53, s[8:9] offset:1440
	v_mul_hi_u32 v0, v18, s0
	s_load_dwordx4 s[0:3], s[2:3], 0x0
	v_cmp_gt_u16_e32 vcc, 10, v52
	v_lshrrev_b32_e32 v0, 1, v0
	v_lshl_add_u32 v0, v0, 1, v0
	v_sub_u32_e32 v0, v18, v0
	v_mul_u32_u24_e32 v1, 0xc8, v0
	v_mul_f32_e32 v0, v3, v36
	v_lshlrev_b32_e32 v39, 3, v1
	v_mul_f32_e32 v1, v2, v36
	v_fmac_f32_e32 v0, v2, v35
	v_fma_f32 v1, v3, v35, -v1
	v_mul_f32_e32 v2, v11, v34
	v_mul_f32_e32 v3, v10, v34
	v_add_u32_e32 v51, v53, v39
	v_fmac_f32_e32 v2, v10, v33
	v_fma_f32 v3, v11, v33, -v3
	ds_write2_b64 v51, v[0:1], v[2:3] offset1:20
	s_waitcnt vmcnt(13)
	v_mul_f32_e32 v0, v13, v28
	v_mul_f32_e32 v1, v12, v28
	s_waitcnt vmcnt(12)
	v_mul_f32_e32 v2, v15, v24
	v_mul_f32_e32 v3, v14, v24
	v_fmac_f32_e32 v0, v12, v27
	v_fma_f32 v1, v13, v27, -v1
	v_fmac_f32_e32 v2, v14, v23
	v_fma_f32 v3, v15, v23, -v3
	ds_write2_b64 v51, v[0:1], v[2:3] offset0:40 offset1:60
	s_waitcnt vmcnt(8)
	v_mul_f32_e32 v0, v38, v32
	v_mul_f32_e32 v1, v37, v32
	s_waitcnt vmcnt(7)
	v_mul_f32_e32 v2, v5, v30
	v_mul_f32_e32 v3, v4, v30
	v_fmac_f32_e32 v0, v37, v31
	v_fma_f32 v1, v38, v31, -v1
	v_fmac_f32_e32 v2, v4, v29
	v_fma_f32 v3, v5, v29, -v3
	ds_write2_b64 v51, v[0:1], v[2:3] offset0:80 offset1:100
	;; [unrolled: 11-line block ×4, first 2 shown]
	s_waitcnt lgkmcnt(0)
	; wave barrier
	s_waitcnt lgkmcnt(0)
	ds_read2_b64 v[0:3], v51 offset1:20
	ds_read2_b64 v[4:7], v51 offset0:40 offset1:60
	ds_read2_b64 v[8:11], v51 offset0:80 offset1:100
	;; [unrolled: 1-line block ×3, first 2 shown]
	s_waitcnt lgkmcnt(2)
	v_add_f32_e32 v40, v1, v5
	s_waitcnt lgkmcnt(1)
	v_add_f32_e32 v47, v40, v9
	v_add_f32_e32 v40, v2, v6
	;; [unrolled: 1-line block ×5, first 2 shown]
	ds_read2_b64 v[40:43], v51 offset0:160 offset1:180
	s_waitcnt lgkmcnt(1)
	v_add_f32_e32 v38, v8, v12
	v_sub_f32_e32 v45, v4, v8
	v_fma_f32 v38, -0.5, v38, v0
	v_add_f32_e32 v37, v0, v4
	s_waitcnt lgkmcnt(0)
	v_sub_f32_e32 v67, v40, v12
	v_sub_f32_e32 v63, v5, v41
	v_add_f32_e32 v45, v45, v67
	v_mov_b32_e32 v67, v38
	v_sub_f32_e32 v44, v9, v13
	v_fmac_f32_e32 v67, 0x3f737871, v63
	v_fmac_f32_e32 v38, 0xbf737871, v63
	v_add_f32_e32 v37, v37, v8
	v_add_f32_e32 v64, v4, v40
	v_fmac_f32_e32 v67, 0x3f167918, v44
	v_fmac_f32_e32 v38, 0xbf167918, v44
	v_sub_f32_e32 v46, v8, v4
	v_sub_f32_e32 v8, v8, v12
	v_add_f32_e32 v37, v37, v12
	v_sub_f32_e32 v12, v12, v40
	v_fmac_f32_e32 v67, 0x3e9e377a, v45
	v_fmac_f32_e32 v38, 0x3e9e377a, v45
	v_fma_f32 v45, -0.5, v64, v0
	v_add_f32_e32 v48, v9, v13
	v_add_f32_e32 v12, v46, v12
	v_mov_b32_e32 v46, v45
	v_sub_f32_e32 v54, v5, v9
	v_sub_f32_e32 v9, v9, v5
	v_add_f32_e32 v5, v5, v41
	v_sub_f32_e32 v68, v41, v13
	v_fmac_f32_e32 v46, 0xbf737871, v44
	v_fmac_f32_e32 v45, 0x3f737871, v44
	v_fma_f32 v44, -0.5, v48, v1
	v_add_f32_e32 v56, v10, v14
	v_sub_f32_e32 v4, v4, v40
	v_add_f32_e32 v0, v54, v68
	v_mov_b32_e32 v48, v44
	v_fma_f32 v54, -0.5, v5, v1
	v_add_f32_e32 v66, v6, v42
	v_fmac_f32_e32 v46, 0x3f167918, v63
	v_fmac_f32_e32 v45, 0xbf167918, v63
	;; [unrolled: 1-line block ×4, first 2 shown]
	v_mov_b32_e32 v63, v54
	v_fma_f32 v1, -0.5, v56, v2
	v_add_f32_e32 v61, v11, v15
	v_sub_f32_e32 v65, v7, v43
	v_add_f32_e32 v47, v47, v13
	v_sub_f32_e32 v13, v13, v41
	v_fmac_f32_e32 v48, 0xbf167918, v8
	v_fmac_f32_e32 v44, 0x3f167918, v8
	v_fmac_f32_e32 v63, 0x3f737871, v8
	v_fmac_f32_e32 v54, 0xbf737871, v8
	v_mov_b32_e32 v5, v1
	v_fma_f32 v8, -0.5, v66, v2
	v_sub_f32_e32 v57, v11, v15
	v_sub_f32_e32 v58, v6, v10
	;; [unrolled: 1-line block ×4, first 2 shown]
	v_add_f32_e32 v7, v7, v43
	v_sub_f32_e32 v69, v42, v14
	v_fmac_f32_e32 v46, 0x3e9e377a, v12
	v_fmac_f32_e32 v45, 0x3e9e377a, v12
	;; [unrolled: 1-line block ×4, first 2 shown]
	v_add_f32_e32 v0, v9, v13
	v_fmac_f32_e32 v63, 0xbf167918, v4
	v_fmac_f32_e32 v54, 0x3f167918, v4
	;; [unrolled: 1-line block ×4, first 2 shown]
	v_mov_b32_e32 v9, v8
	v_add_f32_e32 v12, v37, v40
	v_fma_f32 v40, -0.5, v61, v3
	v_sub_f32_e32 v59, v10, v6
	v_sub_f32_e32 v10, v10, v14
	;; [unrolled: 1-line block ×3, first 2 shown]
	v_add_f32_e32 v55, v55, v14
	v_sub_f32_e32 v14, v14, v42
	v_fmac_f32_e32 v63, 0x3e9e377a, v0
	v_fmac_f32_e32 v54, 0x3e9e377a, v0
	v_add_f32_e32 v0, v58, v69
	v_fmac_f32_e32 v5, 0x3f167918, v57
	v_fmac_f32_e32 v1, 0xbf167918, v57
	;; [unrolled: 1-line block ×4, first 2 shown]
	v_add_f32_e32 v13, v47, v41
	v_mov_b32_e32 v41, v40
	v_fmac_f32_e32 v3, -0.5, v7
	v_sub_f32_e32 v70, v43, v15
	v_fmac_f32_e32 v5, 0x3e9e377a, v0
	v_fmac_f32_e32 v1, 0x3e9e377a, v0
	v_add_f32_e32 v0, v59, v14
	v_fmac_f32_e32 v9, 0x3f167918, v65
	v_fmac_f32_e32 v8, 0xbf167918, v65
	;; [unrolled: 1-line block ×4, first 2 shown]
	v_mov_b32_e32 v7, v3
	v_add_f32_e32 v60, v60, v15
	v_sub_f32_e32 v15, v15, v43
	v_fmac_f32_e32 v9, 0x3e9e377a, v0
	v_fmac_f32_e32 v8, 0x3e9e377a, v0
	;; [unrolled: 1-line block ×3, first 2 shown]
	v_add_f32_e32 v0, v62, v70
	v_fmac_f32_e32 v40, 0x3f167918, v10
	v_fmac_f32_e32 v7, 0x3f737871, v10
	v_fmac_f32_e32 v3, 0xbf737871, v10
	v_fmac_f32_e32 v41, 0x3e9e377a, v0
	v_fmac_f32_e32 v40, 0x3e9e377a, v0
	v_fmac_f32_e32 v7, 0xbf167918, v6
	v_add_f32_e32 v0, v11, v15
	v_fmac_f32_e32 v3, 0x3f167918, v6
	v_mul_f32_e32 v11, 0x3f4f1bbd, v5
	v_add_f32_e32 v14, v55, v42
	v_add_f32_e32 v37, v60, v43
	v_fmac_f32_e32 v7, 0x3e9e377a, v0
	v_fmac_f32_e32 v3, 0x3e9e377a, v0
	;; [unrolled: 1-line block ×3, first 2 shown]
	v_mul_f32_e32 v55, 0xbf167918, v5
	v_mul_f32_e32 v56, 0xbf4f1bbd, v40
	v_add_f32_e32 v0, v12, v14
	v_add_f32_e32 v2, v67, v11
	v_mul_f32_e32 v15, 0x3f737871, v7
	v_mul_f32_e32 v42, 0xbe9e377a, v8
	;; [unrolled: 1-line block ×4, first 2 shown]
	v_fmac_f32_e32 v55, 0x3f4f1bbd, v41
	v_mul_f32_e32 v41, 0xbf737871, v9
	v_fmac_f32_e32 v56, 0xbf167918, v1
	v_add_f32_e32 v1, v13, v37
	v_sub_f32_e32 v10, v12, v14
	v_sub_f32_e32 v12, v67, v11
	;; [unrolled: 1-line block ×3, first 2 shown]
	v_mul_lo_u16_e32 v37, 10, v52
	v_fmac_f32_e32 v15, 0x3e9e377a, v9
	v_fmac_f32_e32 v42, 0x3f737871, v3
	;; [unrolled: 1-line block ×5, first 2 shown]
	v_add_f32_e32 v3, v48, v55
	v_sub_f32_e32 v13, v48, v55
	v_lshl_add_u32 v55, v37, 3, v39
	v_add_f32_e32 v4, v46, v15
	v_add_f32_e32 v6, v45, v42
	;; [unrolled: 1-line block ×6, first 2 shown]
	v_sub_f32_e32 v14, v46, v15
	v_sub_f32_e32 v40, v45, v42
	;; [unrolled: 1-line block ×6, first 2 shown]
	s_waitcnt lgkmcnt(0)
	; wave barrier
	ds_write_b128 v55, v[0:3]
	ds_write_b128 v55, v[4:7] offset:16
	ds_write_b128 v55, v[8:11] offset:32
	;; [unrolled: 1-line block ×4, first 2 shown]
	v_add_u32_e32 v0, -10, v52
	v_cndmask_b32_e32 v48, v0, v52, vcc
	v_mul_i32_i24_e32 v1, 0x48, v48
	v_mul_hi_i32_i24_e32 v0, 0x48, v48
	v_mov_b32_e32 v2, s11
	v_add_co_u32_e32 v40, vcc, s10, v1
	v_addc_co_u32_e32 v41, vcc, v2, v0, vcc
	s_waitcnt lgkmcnt(0)
	; wave barrier
	s_waitcnt lgkmcnt(0)
	global_load_dwordx4 v[0:3], v[40:41], off
	global_load_dwordx4 v[4:7], v[40:41], off offset:16
	global_load_dwordx4 v[8:11], v[40:41], off offset:32
	;; [unrolled: 1-line block ×3, first 2 shown]
	global_load_dwordx2 v[37:38], v[40:41], off offset:64
	ds_read2_b64 v[40:43], v51 offset0:40 offset1:60
	ds_read2_b64 v[44:47], v51 offset0:80 offset1:100
	;; [unrolled: 1-line block ×3, first 2 shown]
	v_cmp_lt_u16_e32 vcc, 9, v52
	s_waitcnt vmcnt(4) lgkmcnt(2)
	v_mul_f32_e32 v54, v41, v3
	v_fma_f32 v60, v40, v2, -v54
	v_mul_f32_e32 v61, v40, v3
	s_waitcnt vmcnt(3)
	v_mul_f32_e32 v40, v43, v5
	v_fma_f32 v62, v42, v4, -v40
	s_waitcnt lgkmcnt(1)
	v_mul_f32_e32 v40, v45, v7
	v_fma_f32 v64, v44, v6, -v40
	s_waitcnt vmcnt(2)
	v_mul_f32_e32 v40, v47, v9
	v_mul_f32_e32 v63, v42, v5
	v_fma_f32 v66, v46, v8, -v40
	s_waitcnt lgkmcnt(0)
	v_mul_f32_e32 v40, v57, v11
	v_fmac_f32_e32 v61, v41, v2
	v_fmac_f32_e32 v63, v43, v4
	v_fma_f32 v68, v56, v10, -v40
	ds_read2_b64 v[40:43], v51 offset0:160 offset1:180
	v_mul_f32_e32 v65, v44, v7
	v_mul_f32_e32 v56, v56, v11
	s_waitcnt vmcnt(1)
	v_mul_f32_e32 v44, v59, v13
	v_mul_f32_e32 v67, v46, v9
	v_fmac_f32_e32 v56, v57, v10
	v_fma_f32 v57, v58, v12, -v44
	v_mul_f32_e32 v58, v58, v13
	s_waitcnt lgkmcnt(0)
	v_mul_f32_e32 v44, v41, v15
	v_fmac_f32_e32 v65, v45, v6
	v_fmac_f32_e32 v67, v47, v8
	;; [unrolled: 1-line block ×3, first 2 shown]
	v_fma_f32 v59, v40, v14, -v44
	ds_read2_b64 v[44:47], v51 offset1:20
	v_mul_f32_e32 v69, v40, v15
	s_waitcnt vmcnt(0)
	v_mul_f32_e32 v40, v43, v38
	v_fma_f32 v70, v42, v37, -v40
	v_mul_f32_e32 v71, v42, v38
	s_waitcnt lgkmcnt(0)
	v_mul_f32_e32 v40, v47, v1
	v_fmac_f32_e32 v71, v43, v37
	v_fma_f32 v43, v46, v0, -v40
	v_add_f32_e32 v40, v64, v68
	v_mul_f32_e32 v46, v46, v1
	v_fma_f32 v72, -0.5, v40, v44
	v_add_f32_e32 v40, v60, v59
	v_fmac_f32_e32 v69, v41, v14
	v_fmac_f32_e32 v46, v47, v0
	v_fma_f32 v47, -0.5, v40, v44
	v_add_f32_e32 v40, v65, v56
	v_fma_f32 v73, -0.5, v40, v45
	v_add_f32_e32 v40, v61, v69
	;; [unrolled: 2-line block ×3, first 2 shown]
	v_sub_f32_e32 v42, v60, v64
	v_sub_f32_e32 v44, v59, v68
	v_add_f32_e32 v75, v42, v44
	v_sub_f32_e32 v42, v61, v65
	v_sub_f32_e32 v44, v69, v56
	v_add_f32_e32 v76, v42, v44
	;; [unrolled: 3-line block ×4, first 2 shown]
	v_add_f32_e32 v44, v67, v58
	v_add_f32_e32 v42, v66, v57
	v_fma_f32 v82, -0.5, v44, v46
	v_fma_f32 v79, -0.5, v42, v43
	v_sub_f32_e32 v83, v62, v70
	v_mov_b32_e32 v44, v82
	v_sub_f32_e32 v80, v63, v71
	v_mov_b32_e32 v42, v79
	v_fmac_f32_e32 v44, 0xbf737871, v83
	v_sub_f32_e32 v84, v66, v57
	v_fmac_f32_e32 v42, 0x3f737871, v80
	v_sub_f32_e32 v81, v67, v58
	v_fmac_f32_e32 v44, 0xbf167918, v84
	v_fmac_f32_e32 v42, 0x3f167918, v81
	;; [unrolled: 1-line block ×3, first 2 shown]
	v_add_f32_e32 v41, v45, v61
	v_fmac_f32_e32 v42, 0x3e9e377a, v77
	v_mul_f32_e32 v45, 0x3f167918, v44
	v_fmac_f32_e32 v45, 0x3f4f1bbd, v42
	v_mul_f32_e32 v85, 0xbf167918, v42
	v_mov_b32_e32 v42, 0x64
	v_cndmask_b32_e32 v42, 0, v42, vcc
	v_add_u32_e32 v42, v48, v42
	v_lshl_add_u32 v54, v42, 3, v39
	v_add_f32_e32 v39, v40, v64
	v_add_f32_e32 v39, v39, v68
	v_fmac_f32_e32 v85, 0x3f4f1bbd, v44
	v_add_f32_e32 v44, v39, v59
	v_add_f32_e32 v39, v41, v65
	;; [unrolled: 1-line block ×7, first 2 shown]
	v_sub_f32_e32 v48, v61, v69
	v_mov_b32_e32 v86, v72
	v_sub_f32_e32 v89, v60, v59
	v_mov_b32_e32 v90, v73
	v_add_f32_e32 v92, v39, v70
	v_add_f32_e32 v39, v46, v63
	v_fmac_f32_e32 v86, 0x3f737871, v48
	v_sub_f32_e32 v87, v65, v56
	v_fmac_f32_e32 v90, 0xbf737871, v89
	v_sub_f32_e32 v91, v64, v68
	v_add_f32_e32 v39, v39, v67
	v_fmac_f32_e32 v86, 0x3f167918, v87
	v_fmac_f32_e32 v90, 0xbf167918, v91
	v_add_f32_e32 v39, v39, v58
	v_fmac_f32_e32 v86, 0x3e9e377a, v75
	v_fmac_f32_e32 v90, 0x3e9e377a, v76
	v_add_f32_e32 v93, v39, v71
	v_add_f32_e32 v39, v44, v92
	;; [unrolled: 1-line block ×5, first 2 shown]
	s_waitcnt lgkmcnt(0)
	; wave barrier
	ds_write2_b64 v54, v[39:40], v[41:42] offset1:10
	v_sub_f32_e32 v40, v68, v59
	v_mov_b32_e32 v59, v47
	v_sub_f32_e32 v39, v64, v60
	v_fmac_f32_e32 v59, 0xbf737871, v87
	v_fmac_f32_e32 v47, 0x3f737871, v87
	v_add_f32_e32 v39, v39, v40
	v_fmac_f32_e32 v59, 0x3f167918, v48
	v_fmac_f32_e32 v47, 0xbf167918, v48
	v_sub_f32_e32 v40, v56, v69
	v_mov_b32_e32 v56, v74
	v_fmac_f32_e32 v59, 0x3e9e377a, v39
	v_fmac_f32_e32 v47, 0x3e9e377a, v39
	v_sub_f32_e32 v39, v65, v61
	v_fmac_f32_e32 v56, 0x3f737871, v91
	v_fmac_f32_e32 v74, 0xbf737871, v91
	v_add_f32_e32 v39, v39, v40
	v_fmac_f32_e32 v56, 0xbf167918, v89
	v_fmac_f32_e32 v74, 0x3f167918, v89
	;; [unrolled: 1-line block ×4, first 2 shown]
	v_add_f32_e32 v39, v62, v70
	v_fmac_f32_e32 v43, -0.5, v39
	v_sub_f32_e32 v39, v66, v62
	v_sub_f32_e32 v40, v57, v70
	v_add_f32_e32 v39, v39, v40
	v_mov_b32_e32 v40, v43
	v_fmac_f32_e32 v40, 0xbf737871, v81
	v_fmac_f32_e32 v43, 0x3f737871, v81
	;; [unrolled: 1-line block ×6, first 2 shown]
	v_add_f32_e32 v39, v63, v71
	v_fmac_f32_e32 v46, -0.5, v39
	v_sub_f32_e32 v39, v67, v63
	v_sub_f32_e32 v41, v58, v71
	v_add_f32_e32 v39, v39, v41
	v_mov_b32_e32 v41, v46
	v_fmac_f32_e32 v41, 0x3f737871, v84
	v_fmac_f32_e32 v46, 0xbf737871, v84
	v_fmac_f32_e32 v41, 0xbf167918, v83
	v_fmac_f32_e32 v46, 0x3f167918, v83
	v_fmac_f32_e32 v41, 0x3e9e377a, v39
	v_fmac_f32_e32 v46, 0x3e9e377a, v39
	v_mul_f32_e32 v60, 0xbe9e377a, v43
	v_mul_f32_e32 v57, 0x3f737871, v41
	;; [unrolled: 1-line block ×3, first 2 shown]
	v_fmac_f32_e32 v60, 0x3f737871, v46
	v_mul_f32_e32 v46, 0xbe9e377a, v46
	v_fmac_f32_e32 v79, 0xbf737871, v80
	v_fmac_f32_e32 v82, 0x3f737871, v83
	;; [unrolled: 1-line block ×7, first 2 shown]
	v_add_f32_e32 v39, v59, v57
	v_add_f32_e32 v40, v56, v58
	;; [unrolled: 1-line block ×4, first 2 shown]
	v_fmac_f32_e32 v72, 0xbf737871, v48
	v_fmac_f32_e32 v73, 0x3f737871, v89
	;; [unrolled: 1-line block ×4, first 2 shown]
	ds_write2_b64 v54, v[39:40], v[41:42] offset0:20 offset1:30
	v_sub_f32_e32 v39, v44, v92
	v_sub_f32_e32 v43, v59, v57
	;; [unrolled: 1-line block ×3, first 2 shown]
	v_fmac_f32_e32 v72, 0xbf167918, v87
	v_fmac_f32_e32 v73, 0x3f167918, v91
	v_mul_f32_e32 v56, 0xbf4f1bbd, v79
	v_mul_f32_e32 v57, 0xbf4f1bbd, v82
	v_fmac_f32_e32 v72, 0x3e9e377a, v75
	v_fmac_f32_e32 v73, 0x3e9e377a, v76
	;; [unrolled: 1-line block ×4, first 2 shown]
	v_sub_f32_e32 v40, v88, v93
	v_sub_f32_e32 v41, v86, v45
	;; [unrolled: 1-line block ×5, first 2 shown]
	v_add_f32_e32 v47, v72, v56
	v_add_f32_e32 v48, v73, v57
	v_sub_f32_e32 v56, v72, v56
	v_sub_f32_e32 v57, v73, v57
	ds_write2_b64 v54, v[47:48], v[39:40] offset0:40 offset1:50
	ds_write2_b64 v54, v[41:42], v[43:44] offset0:60 offset1:70
	;; [unrolled: 1-line block ×3, first 2 shown]
	s_waitcnt lgkmcnt(0)
	; wave barrier
	s_waitcnt lgkmcnt(0)
	global_load_dwordx2 v[39:40], v53, s[10:11] offset:880
	global_load_dwordx2 v[41:42], v53, s[10:11] offset:1040
	;; [unrolled: 1-line block ×5, first 2 shown]
	ds_read2_b64 v[56:59], v51 offset0:120 offset1:140
	s_waitcnt vmcnt(4) lgkmcnt(0)
	v_mul_f32_e32 v60, v57, v40
	v_fma_f32 v64, v56, v39, -v60
	ds_read2_b64 v[60:63], v51 offset0:160 offset1:180
	v_mul_f32_e32 v65, v56, v40
	s_waitcnt vmcnt(3)
	v_mul_f32_e32 v56, v59, v42
	v_fma_f32 v70, v58, v41, -v56
	v_mul_f32_e32 v71, v58, v42
	s_waitcnt vmcnt(2) lgkmcnt(0)
	v_mul_f32_e32 v56, v61, v44
	v_fmac_f32_e32 v65, v57, v39
	v_fmac_f32_e32 v71, v59, v41
	v_fma_f32 v72, v60, v43, -v56
	ds_read2_b64 v[56:59], v51 offset0:80 offset1:100
	v_mul_f32_e32 v73, v60, v44
	s_waitcnt vmcnt(1)
	v_mul_f32_e32 v60, v63, v46
	v_mul_f32_e32 v75, v62, v46
	v_fmac_f32_e32 v73, v61, v43
	v_fma_f32 v74, v62, v45, -v60
	v_fmac_f32_e32 v75, v63, v45
	ds_read2_b64 v[60:63], v51 offset1:20
	s_waitcnt vmcnt(0) lgkmcnt(1)
	v_mul_f32_e32 v66, v59, v48
	v_mul_f32_e32 v67, v58, v48
	v_fma_f32 v66, v58, v47, -v66
	v_fmac_f32_e32 v67, v59, v47
	s_waitcnt lgkmcnt(0)
	v_sub_f32_e32 v58, v60, v66
	v_sub_f32_e32 v59, v61, v67
	;; [unrolled: 1-line block ×4, first 2 shown]
	ds_read2_b64 v[64:67], v51 offset0:40 offset1:60
	v_fma_f32 v60, v60, 2.0, -v58
	v_fma_f32 v61, v61, 2.0, -v59
	v_sub_f32_e32 v74, v56, v74
	v_sub_f32_e32 v75, v57, v75
	s_waitcnt lgkmcnt(0)
	v_sub_f32_e32 v70, v64, v70
	v_sub_f32_e32 v71, v65, v71
	;; [unrolled: 1-line block ×4, first 2 shown]
	v_fma_f32 v64, v64, 2.0, -v70
	v_fma_f32 v65, v65, 2.0, -v71
	;; [unrolled: 1-line block ×8, first 2 shown]
	ds_write_b64 v51, v[58:59] offset:800
	ds_write2_b64 v51, v[60:61], v[62:63] offset1:20
	ds_write2_b64 v51, v[68:69], v[70:71] offset0:120 offset1:140
	ds_write2_b64 v51, v[64:65], v[66:67] offset0:40 offset1:60
	;; [unrolled: 1-line block ×3, first 2 shown]
	ds_write_b64 v51, v[56:57] offset:640
	s_waitcnt lgkmcnt(0)
	; wave barrier
	s_waitcnt lgkmcnt(0)
	global_load_dwordx2 v[60:61], v53, s[8:9] offset:1600
	global_load_dwordx2 v[64:65], v53, s[6:7] offset:160
	;; [unrolled: 1-line block ×10, first 2 shown]
	ds_read2_b64 v[56:59], v51 offset1:20
	s_waitcnt vmcnt(9) lgkmcnt(0)
	v_mul_f32_e32 v53, v57, v61
	v_mul_f32_e32 v83, v56, v61
	v_fma_f32 v82, v56, v60, -v53
	v_fmac_f32_e32 v83, v57, v60
	ds_read2_b64 v[60:63], v51 offset0:40 offset1:60
	s_waitcnt vmcnt(8)
	v_mul_f32_e32 v53, v59, v65
	v_mul_f32_e32 v85, v58, v65
	v_fma_f32 v84, v58, v64, -v53
	v_fmac_f32_e32 v85, v59, v64
	ds_read2_b64 v[56:59], v51 offset0:80 offset1:100
	s_waitcnt vmcnt(7) lgkmcnt(1)
	v_mul_f32_e32 v53, v61, v67
	v_fma_f32 v64, v60, v66, -v53
	v_mul_f32_e32 v65, v60, v67
	s_waitcnt vmcnt(6)
	v_mul_f32_e32 v53, v63, v69
	v_mul_f32_e32 v67, v62, v69
	v_fmac_f32_e32 v65, v61, v66
	v_fma_f32 v66, v62, v68, -v53
	v_fmac_f32_e32 v67, v63, v68
	s_waitcnt vmcnt(5) lgkmcnt(0)
	v_mul_f32_e32 v53, v57, v71
	ds_read2_b64 v[60:63], v51 offset0:120 offset1:140
	v_fma_f32 v68, v56, v70, -v53
	v_mul_f32_e32 v69, v56, v71
	s_waitcnt vmcnt(4)
	v_mul_f32_e32 v53, v59, v73
	v_mul_f32_e32 v71, v58, v73
	v_fmac_f32_e32 v69, v57, v70
	v_fma_f32 v70, v58, v72, -v53
	v_fmac_f32_e32 v71, v59, v72
	ds_read2_b64 v[56:59], v51 offset0:160 offset1:180
	s_waitcnt vmcnt(3) lgkmcnt(1)
	v_mul_f32_e32 v53, v61, v75
	v_mul_f32_e32 v73, v60, v75
	v_fma_f32 v72, v60, v74, -v53
	v_fmac_f32_e32 v73, v61, v74
	s_waitcnt vmcnt(2)
	v_mul_f32_e32 v53, v63, v77
	v_mul_f32_e32 v61, v62, v77
	v_fma_f32 v60, v62, v76, -v53
	v_fmac_f32_e32 v61, v63, v76
	s_waitcnt vmcnt(1) lgkmcnt(0)
	v_mul_f32_e32 v53, v57, v79
	v_mul_f32_e32 v63, v56, v79
	v_fma_f32 v62, v56, v78, -v53
	v_fmac_f32_e32 v63, v57, v78
	s_waitcnt vmcnt(0)
	v_mul_f32_e32 v53, v59, v81
	v_mul_f32_e32 v57, v58, v81
	v_fma_f32 v56, v58, v80, -v53
	v_fmac_f32_e32 v57, v59, v80
	ds_write2_b64 v51, v[82:83], v[84:85] offset1:20
	ds_write2_b64 v51, v[64:65], v[66:67] offset0:40 offset1:60
	ds_write2_b64 v51, v[68:69], v[70:71] offset0:80 offset1:100
	ds_write2_b64 v51, v[72:73], v[60:61] offset0:120 offset1:140
	ds_write2_b64 v51, v[62:63], v[56:57] offset0:160 offset1:180
	s_waitcnt lgkmcnt(0)
	; wave barrier
	s_waitcnt lgkmcnt(0)
	ds_read2_b64 v[56:59], v51 offset1:20
	ds_read2_b64 v[60:63], v51 offset0:40 offset1:60
	ds_read2_b64 v[64:67], v51 offset0:80 offset1:100
	s_waitcnt lgkmcnt(1)
	v_add_f32_e32 v72, v58, v62
	v_add_f32_e32 v68, v57, v61
	s_waitcnt lgkmcnt(0)
	v_add_f32_e32 v77, v72, v66
	v_add_f32_e32 v72, v59, v63
	;; [unrolled: 1-line block ×3, first 2 shown]
	ds_read2_b64 v[68:71], v51 offset0:120 offset1:140
	v_add_f32_e32 v78, v72, v67
	ds_read2_b64 v[72:75], v51 offset0:160 offset1:180
	v_add_f32_e32 v53, v56, v60
	v_add_f32_e32 v53, v53, v64
	s_waitcnt lgkmcnt(1)
	v_sub_f32_e32 v80, v65, v69
	v_sub_f32_e32 v81, v60, v64
	;; [unrolled: 1-line block ×3, first 2 shown]
	v_add_f32_e32 v83, v65, v69
	v_sub_f32_e32 v84, v61, v65
	v_sub_f32_e32 v65, v65, v61
	v_add_f32_e32 v85, v66, v70
	v_sub_f32_e32 v86, v67, v71
	v_sub_f32_e32 v87, v62, v66
	;; [unrolled: 1-line block ×3, first 2 shown]
	v_add_f32_e32 v89, v67, v71
	v_sub_f32_e32 v90, v63, v67
	v_sub_f32_e32 v67, v67, v63
	s_waitcnt lgkmcnt(0)
	v_sub_f32_e32 v91, v61, v73
	v_add_f32_e32 v92, v60, v72
	v_sub_f32_e32 v93, v60, v72
	v_add_f32_e32 v94, v61, v73
	;; [unrolled: 2-line block ×4, first 2 shown]
	v_add_f32_e32 v53, v53, v68
	v_add_f32_e32 v60, v76, v69
	;; [unrolled: 1-line block ×4, first 2 shown]
	v_sub_f32_e32 v63, v72, v68
	v_sub_f32_e32 v76, v73, v69
	v_add_f32_e32 v79, v64, v68
	v_sub_f32_e32 v64, v64, v68
	v_sub_f32_e32 v66, v66, v70
	;; [unrolled: 1-line block ×8, first 2 shown]
	v_add_f32_e32 v53, v53, v72
	v_add_f32_e32 v72, v60, v73
	;; [unrolled: 1-line block ×6, first 2 shown]
	v_fma_f32 v81, -0.5, v85, v58
	v_fma_f32 v84, -0.5, v89, v59
	v_mov_b32_e32 v60, v81
	v_mov_b32_e32 v61, v84
	v_fmac_f32_e32 v60, 0xbf737871, v95
	v_fmac_f32_e32 v61, 0x3f737871, v97
	v_fma_f32 v79, -0.5, v79, v56
	v_fma_f32 v83, -0.5, v83, v57
	v_add_f32_e32 v77, v87, v77
	v_add_f32_e32 v78, v90, v78
	v_fmac_f32_e32 v60, 0xbf167918, v86
	v_fmac_f32_e32 v61, 0x3f167918, v66
	v_mov_b32_e32 v89, v79
	v_mov_b32_e32 v90, v83
	v_fmac_f32_e32 v60, 0x3e9e377a, v77
	v_fmac_f32_e32 v61, 0x3e9e377a, v78
	;; [unrolled: 1-line block ×4, first 2 shown]
	v_mul_f32_e32 v85, 0xbf167918, v61
	v_mul_f32_e32 v87, 0x3f167918, v60
	v_fmac_f32_e32 v89, 0xbf167918, v80
	v_fmac_f32_e32 v90, 0x3f167918, v64
	;; [unrolled: 1-line block ×6, first 2 shown]
	v_add_f32_e32 v60, v53, v73
	v_add_f32_e32 v62, v89, v85
	;; [unrolled: 1-line block ×4, first 2 shown]
	s_waitcnt lgkmcnt(0)
	; wave barrier
	ds_write_b128 v55, v[60:63]
	v_fma_f32 v61, -0.5, v92, v56
	v_fmac_f32_e32 v59, -0.5, v98
	v_fma_f32 v56, -0.5, v96, v58
	v_add_f32_e32 v58, v82, v68
	v_mov_b32_e32 v68, v61
	v_fma_f32 v62, -0.5, v94, v57
	v_mov_b32_e32 v57, v59
	v_fmac_f32_e32 v59, 0x3f737871, v66
	v_fmac_f32_e32 v68, 0x3f737871, v80
	;; [unrolled: 1-line block ×3, first 2 shown]
	v_add_f32_e32 v60, v67, v71
	v_fmac_f32_e32 v59, 0xbf167918, v97
	v_fmac_f32_e32 v68, 0xbf167918, v91
	;; [unrolled: 1-line block ×6, first 2 shown]
	v_add_f32_e32 v58, v65, v69
	v_mov_b32_e32 v65, v62
	v_mul_f32_e32 v63, 0xbf737871, v59
	v_mul_f32_e32 v67, 0xbe9e377a, v59
	v_fmac_f32_e32 v65, 0xbf737871, v64
	v_fmac_f32_e32 v62, 0x3f737871, v64
	v_mov_b32_e32 v59, v56
	v_fmac_f32_e32 v57, 0xbf737871, v66
	v_fmac_f32_e32 v65, 0x3f167918, v93
	;; [unrolled: 1-line block ×8, first 2 shown]
	v_add_f32_e32 v58, v88, v70
	v_fmac_f32_e32 v59, 0xbf167918, v95
	v_fmac_f32_e32 v56, 0x3f167918, v95
	v_fmac_f32_e32 v57, 0x3e9e377a, v60
	v_fmac_f32_e32 v59, 0x3e9e377a, v58
	v_fmac_f32_e32 v56, 0x3e9e377a, v58
	v_mul_f32_e32 v60, 0xbf737871, v57
	v_mul_f32_e32 v69, 0x3e9e377a, v57
	v_fmac_f32_e32 v84, 0xbf737871, v97
	v_fmac_f32_e32 v60, 0x3e9e377a, v59
	;; [unrolled: 1-line block ×7, first 2 shown]
	v_add_f32_e32 v56, v68, v60
	v_add_f32_e32 v58, v61, v63
	;; [unrolled: 1-line block ×4, first 2 shown]
	v_fmac_f32_e32 v79, 0x3f737871, v91
	v_fmac_f32_e32 v83, 0xbf737871, v93
	;; [unrolled: 1-line block ×4, first 2 shown]
	ds_write_b128 v55, v[56:59] offset:16
	v_sub_f32_e32 v58, v53, v73
	v_fmac_f32_e32 v79, 0x3f167918, v80
	v_fmac_f32_e32 v83, 0xbf167918, v64
	;; [unrolled: 1-line block ×3, first 2 shown]
	v_mul_f32_e32 v53, 0xbf167918, v84
	v_mul_f32_e32 v64, 0xbf4f1bbd, v84
	v_fmac_f32_e32 v79, 0x3e9e377a, v75
	v_fmac_f32_e32 v83, 0x3e9e377a, v76
	;; [unrolled: 1-line block ×4, first 2 shown]
	v_sub_f32_e32 v59, v72, v74
	v_add_f32_e32 v56, v79, v53
	v_add_f32_e32 v57, v83, v64
	ds_write_b128 v55, v[56:59] offset:32
	v_sub_f32_e32 v56, v89, v85
	v_sub_f32_e32 v58, v68, v60
	;; [unrolled: 1-line block ×4, first 2 shown]
	ds_write_b128 v55, v[56:59] offset:48
	v_sub_f32_e32 v56, v61, v63
	v_sub_f32_e32 v58, v79, v53
	;; [unrolled: 1-line block ×4, first 2 shown]
	ds_write_b128 v55, v[56:59] offset:64
	s_waitcnt lgkmcnt(0)
	; wave barrier
	s_waitcnt lgkmcnt(0)
	ds_read2_b64 v[55:58], v51 offset0:160 offset1:180
	s_waitcnt lgkmcnt(0)
	v_mul_f32_e32 v53, v38, v58
	v_mul_f32_e32 v38, v38, v57
	v_fmac_f32_e32 v53, v37, v57
	v_fma_f32 v37, v37, v58, -v38
	ds_read2_b64 v[57:60], v51 offset0:120 offset1:140
	v_mul_f32_e32 v38, v15, v56
	v_mul_f32_e32 v15, v15, v55
	v_fmac_f32_e32 v38, v14, v55
	v_fma_f32 v55, v14, v56, -v15
	s_waitcnt lgkmcnt(0)
	v_mul_f32_e32 v56, v13, v60
	v_mul_f32_e32 v13, v13, v59
	v_fmac_f32_e32 v56, v12, v59
	v_fma_f32 v59, v12, v60, -v13
	ds_read2_b64 v[12:15], v51 offset0:80 offset1:100
	v_mul_f32_e32 v60, v11, v58
	v_mul_f32_e32 v11, v11, v57
	v_fmac_f32_e32 v60, v10, v57
	v_fma_f32 v57, v10, v58, -v11
	;; [unrolled: 10-line block ×3, first 2 shown]
	s_waitcnt lgkmcnt(0)
	v_mul_f32_e32 v13, v5, v11
	v_mul_f32_e32 v5, v5, v10
	v_fmac_f32_e32 v13, v4, v10
	v_fma_f32 v10, v4, v11, -v5
	ds_read2_b64 v[4:7], v51 offset1:20
	v_mul_f32_e32 v11, v3, v9
	v_fmac_f32_e32 v11, v2, v8
	v_mul_f32_e32 v3, v3, v8
	v_fma_f32 v2, v2, v9, -v3
	s_waitcnt lgkmcnt(0)
	v_mul_f32_e32 v61, v1, v7
	v_mul_f32_e32 v1, v1, v6
	v_fmac_f32_e32 v61, v0, v6
	v_fma_f32 v62, v0, v7, -v1
	v_add_f32_e32 v0, v15, v60
	v_fma_f32 v63, -0.5, v0, v4
	v_add_f32_e32 v0, v11, v38
	v_fma_f32 v64, -0.5, v0, v4
	;; [unrolled: 2-line block ×4, first 2 shown]
	v_add_f32_e32 v0, v4, v11
	v_sub_f32_e32 v3, v11, v15
	v_sub_f32_e32 v4, v38, v60
	v_add_f32_e32 v3, v3, v4
	v_sub_f32_e32 v4, v2, v55
	v_mov_b32_e32 v6, v63
	v_add_f32_e32 v1, v5, v2
	v_fmac_f32_e32 v6, 0xbf737871, v4
	v_sub_f32_e32 v5, v12, v57
	v_fmac_f32_e32 v63, 0x3f737871, v4
	v_fmac_f32_e32 v6, 0xbf167918, v5
	;; [unrolled: 1-line block ×3, first 2 shown]
	v_mov_b32_e32 v67, v64
	v_fmac_f32_e32 v6, 0x3e9e377a, v3
	v_fmac_f32_e32 v63, 0x3e9e377a, v3
	v_sub_f32_e32 v3, v15, v11
	v_sub_f32_e32 v7, v60, v38
	v_fmac_f32_e32 v67, 0x3f737871, v5
	v_fmac_f32_e32 v64, 0xbf737871, v5
	v_add_f32_e32 v0, v0, v15
	v_add_f32_e32 v3, v3, v7
	v_fmac_f32_e32 v67, 0xbf167918, v4
	v_fmac_f32_e32 v64, 0x3f167918, v4
	v_add_f32_e32 v0, v0, v60
	v_sub_f32_e32 v5, v2, v12
	v_sub_f32_e32 v7, v55, v57
	v_fmac_f32_e32 v67, 0x3e9e377a, v3
	v_fmac_f32_e32 v64, 0x3e9e377a, v3
	v_add_f32_e32 v3, v0, v38
	v_sub_f32_e32 v0, v11, v38
	v_add_f32_e32 v5, v5, v7
	v_mov_b32_e32 v7, v65
	v_sub_f32_e32 v4, v15, v60
	v_fmac_f32_e32 v7, 0x3f737871, v0
	v_fmac_f32_e32 v65, 0xbf737871, v0
	v_add_f32_e32 v1, v1, v12
	v_fmac_f32_e32 v7, 0x3f167918, v4
	v_fmac_f32_e32 v65, 0xbf167918, v4
	v_add_f32_e32 v1, v1, v57
	v_mov_b32_e32 v11, v66
	v_fmac_f32_e32 v7, 0x3e9e377a, v5
	v_fmac_f32_e32 v65, 0x3e9e377a, v5
	v_sub_f32_e32 v2, v12, v2
	v_add_f32_e32 v5, v1, v55
	v_sub_f32_e32 v1, v57, v55
	v_fmac_f32_e32 v11, 0xbf737871, v4
	v_fmac_f32_e32 v66, 0x3f737871, v4
	v_add_f32_e32 v1, v2, v1
	v_fmac_f32_e32 v11, 0x3f167918, v0
	v_fmac_f32_e32 v66, 0xbf167918, v0
	v_add_f32_e32 v0, v58, v56
	v_fmac_f32_e32 v11, 0x3e9e377a, v1
	v_fmac_f32_e32 v66, 0x3e9e377a, v1
	v_fma_f32 v38, -0.5, v0, v61
	v_sub_f32_e32 v0, v13, v58
	v_sub_f32_e32 v1, v53, v56
	v_add_f32_e32 v0, v0, v1
	v_sub_f32_e32 v1, v10, v37
	v_mov_b32_e32 v8, v38
	v_fmac_f32_e32 v8, 0xbf737871, v1
	v_sub_f32_e32 v2, v14, v59
	v_fmac_f32_e32 v38, 0x3f737871, v1
	v_fmac_f32_e32 v8, 0xbf167918, v2
	;; [unrolled: 1-line block ×3, first 2 shown]
	v_add_f32_e32 v4, v13, v53
	v_fmac_f32_e32 v8, 0x3e9e377a, v0
	v_fmac_f32_e32 v38, 0x3e9e377a, v0
	v_add_f32_e32 v0, v61, v13
	v_fmac_f32_e32 v61, -0.5, v4
	v_sub_f32_e32 v4, v58, v13
	v_sub_f32_e32 v9, v56, v53
	v_add_f32_e32 v4, v4, v9
	v_mov_b32_e32 v9, v61
	v_fmac_f32_e32 v9, 0x3f737871, v2
	v_fmac_f32_e32 v61, 0xbf737871, v2
	;; [unrolled: 1-line block ×6, first 2 shown]
	v_add_f32_e32 v0, v0, v58
	v_sub_f32_e32 v4, v10, v14
	v_sub_f32_e32 v12, v37, v59
	v_add_f32_e32 v0, v0, v56
	v_add_f32_e32 v4, v4, v12
	;; [unrolled: 1-line block ×4, first 2 shown]
	v_sub_f32_e32 v0, v13, v53
	v_fma_f32 v53, -0.5, v12, v62
	v_mov_b32_e32 v12, v53
	v_sub_f32_e32 v1, v58, v56
	v_fmac_f32_e32 v12, 0x3f737871, v0
	v_fmac_f32_e32 v53, 0xbf737871, v0
	;; [unrolled: 1-line block ×4, first 2 shown]
	v_add_f32_e32 v13, v10, v37
	v_fmac_f32_e32 v12, 0x3e9e377a, v4
	v_fmac_f32_e32 v53, 0x3e9e377a, v4
	v_add_f32_e32 v4, v62, v10
	v_fmac_f32_e32 v62, -0.5, v13
	v_sub_f32_e32 v10, v14, v10
	v_sub_f32_e32 v13, v59, v37
	v_add_f32_e32 v10, v10, v13
	v_mov_b32_e32 v13, v62
	v_fmac_f32_e32 v13, 0xbf737871, v1
	v_fmac_f32_e32 v62, 0x3f737871, v1
	v_add_f32_e32 v4, v4, v14
	v_fmac_f32_e32 v13, 0x3f167918, v0
	v_fmac_f32_e32 v62, 0xbf167918, v0
	v_add_f32_e32 v4, v4, v59
	v_fmac_f32_e32 v13, 0x3e9e377a, v10
	v_fmac_f32_e32 v62, 0x3e9e377a, v10
	v_mul_f32_e32 v10, 0xbf167918, v12
	v_mul_f32_e32 v12, 0x3f4f1bbd, v12
	v_add_f32_e32 v4, v4, v37
	v_fmac_f32_e32 v12, 0x3f167918, v8
	v_add_f32_e32 v0, v3, v2
	v_add_f32_e32 v1, v5, v4
	v_sub_f32_e32 v2, v3, v2
	v_sub_f32_e32 v3, v5, v4
	v_mul_f32_e32 v14, 0xbf737871, v13
	v_add_f32_e32 v5, v7, v12
	v_sub_f32_e32 v7, v7, v12
	v_mul_f32_e32 v12, 0x3e9e377a, v13
	v_mul_f32_e32 v15, 0xbf737871, v62
	;; [unrolled: 1-line block ×5, first 2 shown]
	v_fmac_f32_e32 v10, 0x3f4f1bbd, v8
	v_fmac_f32_e32 v14, 0x3e9e377a, v9
	;; [unrolled: 1-line block ×7, first 2 shown]
	v_add_f32_e32 v4, v6, v10
	v_sub_f32_e32 v6, v6, v10
	v_add_f32_e32 v8, v67, v14
	v_add_f32_e32 v9, v11, v12
	v_sub_f32_e32 v10, v67, v14
	v_sub_f32_e32 v11, v11, v12
	v_add_f32_e32 v12, v64, v15
	v_add_f32_e32 v13, v66, v37
	v_sub_f32_e32 v14, v64, v15
	v_sub_f32_e32 v15, v66, v37
	v_add_f32_e32 v37, v63, v55
	v_sub_f32_e32 v55, v63, v55
	v_sub_f32_e32 v56, v65, v53
	v_add_f32_e32 v38, v65, v53
	s_waitcnt lgkmcnt(0)
	; wave barrier
	ds_write2_b64 v54, v[0:1], v[4:5] offset1:10
	ds_write2_b64 v54, v[8:9], v[12:13] offset0:20 offset1:30
	ds_write2_b64 v54, v[37:38], v[2:3] offset0:40 offset1:50
	;; [unrolled: 1-line block ×4, first 2 shown]
	s_waitcnt lgkmcnt(0)
	; wave barrier
	s_waitcnt lgkmcnt(0)
	ds_read2_b64 v[0:3], v51 offset0:80 offset1:100
	ds_read2_b64 v[4:7], v51 offset1:20
	ds_read2_b64 v[8:11], v51 offset0:120 offset1:140
	ds_read2_b64 v[12:15], v51 offset0:40 offset1:60
	;; [unrolled: 1-line block ×3, first 2 shown]
	s_waitcnt lgkmcnt(4)
	v_mul_f32_e32 v37, v48, v3
	v_fmac_f32_e32 v37, v47, v2
	v_mul_f32_e32 v2, v48, v2
	v_fma_f32 v3, v47, v3, -v2
	s_waitcnt lgkmcnt(2)
	v_mul_f32_e32 v2, v40, v8
	v_mul_f32_e32 v38, v40, v9
	v_fma_f32 v9, v39, v9, -v2
	v_mul_f32_e32 v2, v42, v10
	v_fmac_f32_e32 v38, v39, v8
	v_mul_f32_e32 v39, v42, v11
	v_fma_f32 v11, v41, v11, -v2
	s_waitcnt lgkmcnt(0)
	v_mul_f32_e32 v2, v44, v53
	v_fmac_f32_e32 v39, v41, v10
	v_mul_f32_e32 v40, v44, v54
	v_fma_f32 v41, v43, v54, -v2
	v_mul_f32_e32 v42, v46, v56
	v_mul_f32_e32 v2, v46, v55
	v_fmac_f32_e32 v40, v43, v53
	v_fmac_f32_e32 v42, v45, v55
	v_fma_f32 v43, v45, v56, -v2
	v_sub_f32_e32 v2, v4, v37
	v_sub_f32_e32 v3, v5, v3
	;; [unrolled: 1-line block ×8, first 2 shown]
	v_fma_f32 v4, v4, 2.0, -v2
	v_fma_f32 v5, v5, 2.0, -v3
	;; [unrolled: 1-line block ×4, first 2 shown]
	v_sub_f32_e32 v11, v13, v11
	v_sub_f32_e32 v38, v15, v41
	v_fma_f32 v0, v0, 2.0, -v39
	v_fma_f32 v1, v1, 2.0, -v40
	;; [unrolled: 1-line block ×6, first 2 shown]
	ds_write2_b64 v51, v[4:5], v[6:7] offset1:20
	ds_write2_b64 v51, v[8:9], v[10:11] offset0:120 offset1:140
	ds_write2_b64 v51, v[12:13], v[14:15] offset0:40 offset1:60
	;; [unrolled: 1-line block ×4, first 2 shown]
	s_waitcnt lgkmcnt(0)
	; wave barrier
	s_waitcnt lgkmcnt(0)
	ds_read2_b64 v[0:3], v51 offset1:20
	v_mad_u64_u32 v[57:58], s[6:7], s2, v18, 0
	s_load_dwordx2 s[6:7], s[4:5], 0x38
	s_mov_b32 s4, 0x47ae147b
	s_waitcnt lgkmcnt(0)
	v_mul_f32_e32 v5, v36, v1
	v_fmac_f32_e32 v5, v35, v0
	v_cvt_f64_f32_e32 v[5:6], v5
	s_mov_b32 s5, 0x3f747ae1
	v_mul_f32_e32 v0, v36, v0
	v_fma_f32 v0, v35, v1, -v0
	v_mul_f64 v[5:6], v[5:6], s[4:5]
	v_cvt_f64_f32_e32 v[0:1], v0
	v_mad_u64_u32 v[7:8], s[8:9], s0, v52, 0
	v_mov_b32_e32 v4, v58
	v_mul_f64 v[0:1], v[0:1], s[4:5]
	v_mad_u64_u32 v[9:10], s[2:3], s3, v18, v[4:5]
	v_mov_b32_e32 v4, v8
	v_mad_u64_u32 v[10:11], s[2:3], s1, v52, v[4:5]
	v_mov_b32_e32 v58, v9
	v_mul_f32_e32 v9, v34, v3
	v_fmac_f32_e32 v9, v33, v2
	v_mov_b32_e32 v8, v10
	v_cvt_f64_f32_e32 v[9:10], v9
	v_cvt_f32_f64_e32 v4, v[5:6]
	v_cvt_f32_f64_e32 v5, v[0:1]
	v_lshlrev_b64 v[0:1], 3, v[57:58]
	v_mov_b32_e32 v6, s7
	v_mul_f32_e32 v2, v34, v2
	v_add_co_u32_e32 v12, vcc, s6, v0
	v_fma_f32 v2, v33, v3, -v2
	v_addc_co_u32_e32 v13, vcc, v6, v1, vcc
	v_mul_f64 v[0:1], v[9:10], s[4:5]
	v_cvt_f64_f32_e32 v[2:3], v2
	v_lshlrev_b64 v[6:7], 3, v[7:8]
	s_mul_i32 s2, s1, 0xa0
	v_add_co_u32_e32 v6, vcc, v12, v6
	v_mul_f64 v[8:9], v[2:3], s[4:5]
	v_addc_co_u32_e32 v7, vcc, v13, v7, vcc
	global_store_dwordx2 v[6:7], v[4:5], off
	v_cvt_f32_f64_e32 v4, v[0:1]
	ds_read2_b64 v[0:3], v51 offset0:40 offset1:60
	s_mul_hi_u32 s3, s0, 0xa0
	s_add_i32 s2, s3, s2
	v_cvt_f32_f64_e32 v5, v[8:9]
	s_mul_i32 s3, s0, 0xa0
	s_waitcnt lgkmcnt(0)
	v_mul_f32_e32 v8, v28, v1
	v_fmac_f32_e32 v8, v27, v0
	v_mul_f32_e32 v0, v28, v0
	v_fma_f32 v0, v27, v1, -v0
	v_cvt_f64_f32_e32 v[8:9], v8
	v_cvt_f64_f32_e32 v[0:1], v0
	v_mov_b32_e32 v10, s2
	v_add_co_u32_e32 v6, vcc, s3, v6
	v_mul_f64 v[8:9], v[8:9], s[4:5]
	v_mul_f64 v[0:1], v[0:1], s[4:5]
	v_addc_co_u32_e32 v7, vcc, v7, v10, vcc
	global_store_dwordx2 v[6:7], v[4:5], off
	v_mul_f32_e32 v4, v24, v3
	v_fmac_f32_e32 v4, v23, v2
	v_cvt_f64_f32_e32 v[4:5], v4
	v_cvt_f32_f64_e32 v8, v[8:9]
	v_cvt_f32_f64_e32 v9, v[0:1]
	v_mul_f32_e32 v0, v24, v2
	v_mul_f64 v[4:5], v[4:5], s[4:5]
	v_fma_f32 v0, v23, v3, -v0
	v_cvt_f64_f32_e32 v[10:11], v0
	ds_read2_b64 v[0:3], v51 offset0:80 offset1:100
	v_mov_b32_e32 v14, s2
	v_add_co_u32_e32 v6, vcc, s3, v6
	v_addc_co_u32_e32 v7, vcc, v7, v14, vcc
	global_store_dwordx2 v[6:7], v[8:9], off
	v_mul_f64 v[8:9], v[10:11], s[4:5]
	v_cvt_f32_f64_e32 v4, v[4:5]
	s_waitcnt lgkmcnt(0)
	v_mul_f32_e32 v5, v32, v1
	v_fmac_f32_e32 v5, v31, v0
	v_mul_f32_e32 v0, v32, v0
	v_fma_f32 v0, v31, v1, -v0
	v_cvt_f64_f32_e32 v[10:11], v5
	v_cvt_f64_f32_e32 v[0:1], v0
	v_cvt_f32_f64_e32 v5, v[8:9]
	v_add_co_u32_e32 v6, vcc, s3, v6
	v_mul_f64 v[8:9], v[10:11], s[4:5]
	v_mul_f64 v[0:1], v[0:1], s[4:5]
	v_addc_co_u32_e32 v7, vcc, v7, v14, vcc
	global_store_dwordx2 v[6:7], v[4:5], off
	v_mul_f32_e32 v4, v30, v3
	v_fmac_f32_e32 v4, v29, v2
	v_cvt_f64_f32_e32 v[4:5], v4
	v_cvt_f32_f64_e32 v8, v[8:9]
	v_cvt_f32_f64_e32 v9, v[0:1]
	v_mul_f32_e32 v0, v30, v2
	v_fma_f32 v0, v29, v3, -v0
	v_mul_f64 v[4:5], v[4:5], s[4:5]
	v_cvt_f64_f32_e32 v[10:11], v0
	v_add_co_u32_e32 v6, vcc, s3, v6
	ds_read2_b64 v[0:3], v51 offset0:120 offset1:140
	v_addc_co_u32_e32 v7, vcc, v7, v14, vcc
	global_store_dwordx2 v[6:7], v[8:9], off
	v_mul_f64 v[8:9], v[10:11], s[4:5]
	v_cvt_f32_f64_e32 v4, v[4:5]
	s_waitcnt lgkmcnt(0)
	v_mul_f32_e32 v5, v26, v1
	v_fmac_f32_e32 v5, v25, v0
	v_mul_f32_e32 v0, v26, v0
	v_fma_f32 v0, v25, v1, -v0
	v_cvt_f64_f32_e32 v[10:11], v5
	v_cvt_f64_f32_e32 v[0:1], v0
	v_cvt_f32_f64_e32 v5, v[8:9]
	v_add_co_u32_e32 v6, vcc, s3, v6
	v_mul_f64 v[8:9], v[10:11], s[4:5]
	v_mul_f64 v[0:1], v[0:1], s[4:5]
	v_addc_co_u32_e32 v7, vcc, v7, v14, vcc
	global_store_dwordx2 v[6:7], v[4:5], off
	v_mul_f32_e32 v4, v22, v3
	v_fmac_f32_e32 v4, v21, v2
	v_cvt_f64_f32_e32 v[4:5], v4
	v_cvt_f32_f64_e32 v8, v[8:9]
	v_cvt_f32_f64_e32 v9, v[0:1]
	v_mul_f32_e32 v0, v22, v2
	v_mul_f64 v[4:5], v[4:5], s[4:5]
	v_fma_f32 v0, v21, v3, -v0
	v_cvt_f64_f32_e32 v[10:11], v0
	ds_read2_b64 v[0:3], v51 offset0:160 offset1:180
	v_add_co_u32_e32 v6, vcc, s3, v6
	v_addc_co_u32_e32 v7, vcc, v7, v14, vcc
	v_cvt_f32_f64_e32 v4, v[4:5]
	s_waitcnt lgkmcnt(0)
	v_mul_f32_e32 v5, v20, v1
	v_fmac_f32_e32 v5, v19, v0
	v_mul_f32_e32 v0, v20, v0
	v_fma_f32 v0, v19, v1, -v0
	global_store_dwordx2 v[6:7], v[8:9], off
	v_mul_f64 v[8:9], v[10:11], s[4:5]
	v_cvt_f64_f32_e32 v[0:1], v0
	v_cvt_f64_f32_e32 v[10:11], v5
	v_add_co_u32_e32 v6, vcc, s3, v6
	v_mul_f64 v[0:1], v[0:1], s[4:5]
	v_addc_co_u32_e32 v7, vcc, v7, v14, vcc
	v_cvt_f32_f64_e32 v5, v[8:9]
	v_mul_f64 v[8:9], v[10:11], s[4:5]
	v_mad_u64_u32 v[10:11], s[2:3], s0, v50, 0
	global_store_dwordx2 v[6:7], v[4:5], off
	v_cvt_f32_f64_e32 v5, v[0:1]
	v_mov_b32_e32 v0, v11
	v_mad_u64_u32 v[0:1], s[2:3], s1, v50, v[0:1]
	v_mul_f32_e32 v1, v17, v3
	v_fmac_f32_e32 v1, v16, v2
	v_cvt_f32_f64_e32 v4, v[8:9]
	v_cvt_f64_f32_e32 v[8:9], v1
	v_mul_f32_e32 v1, v17, v2
	v_fma_f32 v1, v16, v3, -v1
	v_cvt_f64_f32_e32 v[1:2], v1
	v_mul_f64 v[8:9], v[8:9], s[4:5]
	v_mov_b32_e32 v11, v0
	v_mad_u64_u32 v[6:7], s[2:3], s0, v49, v[6:7]
	v_mul_f64 v[0:1], v[1:2], s[4:5]
	v_lshlrev_b64 v[10:11], 3, v[10:11]
	s_mul_i32 s0, s1, 0x140
	v_add_co_u32_e32 v2, vcc, v12, v10
	v_cvt_f32_f64_e32 v8, v[8:9]
	v_addc_co_u32_e32 v3, vcc, v13, v11, vcc
	v_cvt_f32_f64_e32 v9, v[0:1]
	v_add_u32_e32 v7, s0, v7
	global_store_dwordx2 v[2:3], v[4:5], off
	global_store_dwordx2 v[6:7], v[8:9], off
.LBB0_2:
	s_endpgm
	.section	.rodata,"a",@progbits
	.p2align	6, 0x0
	.amdhsa_kernel bluestein_single_fwd_len200_dim1_sp_op_CI_CI
		.amdhsa_group_segment_fixed_size 4800
		.amdhsa_private_segment_fixed_size 0
		.amdhsa_kernarg_size 104
		.amdhsa_user_sgpr_count 6
		.amdhsa_user_sgpr_private_segment_buffer 1
		.amdhsa_user_sgpr_dispatch_ptr 0
		.amdhsa_user_sgpr_queue_ptr 0
		.amdhsa_user_sgpr_kernarg_segment_ptr 1
		.amdhsa_user_sgpr_dispatch_id 0
		.amdhsa_user_sgpr_flat_scratch_init 0
		.amdhsa_user_sgpr_private_segment_size 0
		.amdhsa_uses_dynamic_stack 0
		.amdhsa_system_sgpr_private_segment_wavefront_offset 0
		.amdhsa_system_sgpr_workgroup_id_x 1
		.amdhsa_system_sgpr_workgroup_id_y 0
		.amdhsa_system_sgpr_workgroup_id_z 0
		.amdhsa_system_sgpr_workgroup_info 0
		.amdhsa_system_vgpr_workitem_id 0
		.amdhsa_next_free_vgpr 99
		.amdhsa_next_free_sgpr 20
		.amdhsa_reserve_vcc 1
		.amdhsa_reserve_flat_scratch 0
		.amdhsa_float_round_mode_32 0
		.amdhsa_float_round_mode_16_64 0
		.amdhsa_float_denorm_mode_32 3
		.amdhsa_float_denorm_mode_16_64 3
		.amdhsa_dx10_clamp 1
		.amdhsa_ieee_mode 1
		.amdhsa_fp16_overflow 0
		.amdhsa_exception_fp_ieee_invalid_op 0
		.amdhsa_exception_fp_denorm_src 0
		.amdhsa_exception_fp_ieee_div_zero 0
		.amdhsa_exception_fp_ieee_overflow 0
		.amdhsa_exception_fp_ieee_underflow 0
		.amdhsa_exception_fp_ieee_inexact 0
		.amdhsa_exception_int_div_zero 0
	.end_amdhsa_kernel
	.text
.Lfunc_end0:
	.size	bluestein_single_fwd_len200_dim1_sp_op_CI_CI, .Lfunc_end0-bluestein_single_fwd_len200_dim1_sp_op_CI_CI
                                        ; -- End function
	.section	.AMDGPU.csdata,"",@progbits
; Kernel info:
; codeLenInByte = 7464
; NumSgprs: 24
; NumVgprs: 99
; ScratchSize: 0
; MemoryBound: 0
; FloatMode: 240
; IeeeMode: 1
; LDSByteSize: 4800 bytes/workgroup (compile time only)
; SGPRBlocks: 2
; VGPRBlocks: 24
; NumSGPRsForWavesPerEU: 24
; NumVGPRsForWavesPerEU: 99
; Occupancy: 2
; WaveLimiterHint : 1
; COMPUTE_PGM_RSRC2:SCRATCH_EN: 0
; COMPUTE_PGM_RSRC2:USER_SGPR: 6
; COMPUTE_PGM_RSRC2:TRAP_HANDLER: 0
; COMPUTE_PGM_RSRC2:TGID_X_EN: 1
; COMPUTE_PGM_RSRC2:TGID_Y_EN: 0
; COMPUTE_PGM_RSRC2:TGID_Z_EN: 0
; COMPUTE_PGM_RSRC2:TIDIG_COMP_CNT: 0
	.type	__hip_cuid_e4f2611e5f697f78,@object ; @__hip_cuid_e4f2611e5f697f78
	.section	.bss,"aw",@nobits
	.globl	__hip_cuid_e4f2611e5f697f78
__hip_cuid_e4f2611e5f697f78:
	.byte	0                               ; 0x0
	.size	__hip_cuid_e4f2611e5f697f78, 1

	.ident	"AMD clang version 19.0.0git (https://github.com/RadeonOpenCompute/llvm-project roc-6.4.0 25133 c7fe45cf4b819c5991fe208aaa96edf142730f1d)"
	.section	".note.GNU-stack","",@progbits
	.addrsig
	.addrsig_sym __hip_cuid_e4f2611e5f697f78
	.amdgpu_metadata
---
amdhsa.kernels:
  - .args:
      - .actual_access:  read_only
        .address_space:  global
        .offset:         0
        .size:           8
        .value_kind:     global_buffer
      - .actual_access:  read_only
        .address_space:  global
        .offset:         8
        .size:           8
        .value_kind:     global_buffer
      - .actual_access:  read_only
        .address_space:  global
        .offset:         16
        .size:           8
        .value_kind:     global_buffer
      - .actual_access:  read_only
        .address_space:  global
        .offset:         24
        .size:           8
        .value_kind:     global_buffer
      - .actual_access:  read_only
        .address_space:  global
        .offset:         32
        .size:           8
        .value_kind:     global_buffer
      - .offset:         40
        .size:           8
        .value_kind:     by_value
      - .address_space:  global
        .offset:         48
        .size:           8
        .value_kind:     global_buffer
      - .address_space:  global
        .offset:         56
        .size:           8
        .value_kind:     global_buffer
      - .address_space:  global
        .offset:         64
        .size:           8
        .value_kind:     global_buffer
      - .address_space:  global
        .offset:         72
        .size:           8
        .value_kind:     global_buffer
      - .offset:         80
        .size:           4
        .value_kind:     by_value
      - .address_space:  global
        .offset:         88
        .size:           8
        .value_kind:     global_buffer
      - .address_space:  global
        .offset:         96
        .size:           8
        .value_kind:     global_buffer
    .group_segment_fixed_size: 4800
    .kernarg_segment_align: 8
    .kernarg_segment_size: 104
    .language:       OpenCL C
    .language_version:
      - 2
      - 0
    .max_flat_workgroup_size: 60
    .name:           bluestein_single_fwd_len200_dim1_sp_op_CI_CI
    .private_segment_fixed_size: 0
    .sgpr_count:     24
    .sgpr_spill_count: 0
    .symbol:         bluestein_single_fwd_len200_dim1_sp_op_CI_CI.kd
    .uniform_work_group_size: 1
    .uses_dynamic_stack: false
    .vgpr_count:     99
    .vgpr_spill_count: 0
    .wavefront_size: 64
amdhsa.target:   amdgcn-amd-amdhsa--gfx906
amdhsa.version:
  - 1
  - 2
...

	.end_amdgpu_metadata
